;; amdgpu-corpus repo=ROCm/rocFFT kind=compiled arch=gfx1030 opt=O3
	.text
	.amdgcn_target "amdgcn-amd-amdhsa--gfx1030"
	.amdhsa_code_object_version 6
	.protected	fft_rtc_fwd_len1300_factors_10_10_13_wgs_130_tpt_130_dp_ip_CI_unitstride_sbrr_dirReg ; -- Begin function fft_rtc_fwd_len1300_factors_10_10_13_wgs_130_tpt_130_dp_ip_CI_unitstride_sbrr_dirReg
	.globl	fft_rtc_fwd_len1300_factors_10_10_13_wgs_130_tpt_130_dp_ip_CI_unitstride_sbrr_dirReg
	.p2align	8
	.type	fft_rtc_fwd_len1300_factors_10_10_13_wgs_130_tpt_130_dp_ip_CI_unitstride_sbrr_dirReg,@function
fft_rtc_fwd_len1300_factors_10_10_13_wgs_130_tpt_130_dp_ip_CI_unitstride_sbrr_dirReg: ; @fft_rtc_fwd_len1300_factors_10_10_13_wgs_130_tpt_130_dp_ip_CI_unitstride_sbrr_dirReg
; %bb.0:
	s_clause 0x2
	s_load_dwordx4 s[8:11], s[4:5], 0x0
	s_load_dwordx2 s[2:3], s[4:5], 0x50
	s_load_dwordx2 s[12:13], s[4:5], 0x18
	v_mul_u32_u24_e32 v1, 0x1f9, v0
	v_mov_b32_e32 v3, 0
	v_add_nc_u32_sdwa v5, s6, v1 dst_sel:DWORD dst_unused:UNUSED_PAD src0_sel:DWORD src1_sel:WORD_1
	v_mov_b32_e32 v1, 0
	v_mov_b32_e32 v6, v3
	v_mov_b32_e32 v2, 0
	s_waitcnt lgkmcnt(0)
	v_cmp_lt_u64_e64 s0, s[10:11], 2
	s_and_b32 vcc_lo, exec_lo, s0
	s_cbranch_vccnz .LBB0_8
; %bb.1:
	s_load_dwordx2 s[0:1], s[4:5], 0x10
	v_mov_b32_e32 v1, 0
	s_add_u32 s6, s12, 8
	v_mov_b32_e32 v2, 0
	s_addc_u32 s7, s13, 0
	s_mov_b64 s[16:17], 1
	s_waitcnt lgkmcnt(0)
	s_add_u32 s14, s0, 8
	s_addc_u32 s15, s1, 0
.LBB0_2:                                ; =>This Inner Loop Header: Depth=1
	s_load_dwordx2 s[18:19], s[14:15], 0x0
                                        ; implicit-def: $vgpr7_vgpr8
	s_mov_b32 s0, exec_lo
	s_waitcnt lgkmcnt(0)
	v_or_b32_e32 v4, s19, v6
	v_cmpx_ne_u64_e32 0, v[3:4]
	s_xor_b32 s1, exec_lo, s0
	s_cbranch_execz .LBB0_4
; %bb.3:                                ;   in Loop: Header=BB0_2 Depth=1
	v_cvt_f32_u32_e32 v4, s18
	v_cvt_f32_u32_e32 v7, s19
	s_sub_u32 s0, 0, s18
	s_subb_u32 s20, 0, s19
	v_fmac_f32_e32 v4, 0x4f800000, v7
	v_rcp_f32_e32 v4, v4
	v_mul_f32_e32 v4, 0x5f7ffffc, v4
	v_mul_f32_e32 v7, 0x2f800000, v4
	v_trunc_f32_e32 v7, v7
	v_fmac_f32_e32 v4, 0xcf800000, v7
	v_cvt_u32_f32_e32 v7, v7
	v_cvt_u32_f32_e32 v4, v4
	v_mul_lo_u32 v8, s0, v7
	v_mul_hi_u32 v9, s0, v4
	v_mul_lo_u32 v10, s20, v4
	v_add_nc_u32_e32 v8, v9, v8
	v_mul_lo_u32 v9, s0, v4
	v_add_nc_u32_e32 v8, v8, v10
	v_mul_hi_u32 v10, v4, v9
	v_mul_lo_u32 v11, v4, v8
	v_mul_hi_u32 v12, v4, v8
	v_mul_hi_u32 v13, v7, v9
	v_mul_lo_u32 v9, v7, v9
	v_mul_hi_u32 v14, v7, v8
	v_mul_lo_u32 v8, v7, v8
	v_add_co_u32 v10, vcc_lo, v10, v11
	v_add_co_ci_u32_e32 v11, vcc_lo, 0, v12, vcc_lo
	v_add_co_u32 v9, vcc_lo, v10, v9
	v_add_co_ci_u32_e32 v9, vcc_lo, v11, v13, vcc_lo
	v_add_co_ci_u32_e32 v10, vcc_lo, 0, v14, vcc_lo
	v_add_co_u32 v8, vcc_lo, v9, v8
	v_add_co_ci_u32_e32 v9, vcc_lo, 0, v10, vcc_lo
	v_add_co_u32 v4, vcc_lo, v4, v8
	v_add_co_ci_u32_e32 v7, vcc_lo, v7, v9, vcc_lo
	v_mul_hi_u32 v8, s0, v4
	v_mul_lo_u32 v10, s20, v4
	v_mul_lo_u32 v9, s0, v7
	v_add_nc_u32_e32 v8, v8, v9
	v_mul_lo_u32 v9, s0, v4
	v_add_nc_u32_e32 v8, v8, v10
	v_mul_hi_u32 v10, v4, v9
	v_mul_lo_u32 v11, v4, v8
	v_mul_hi_u32 v12, v4, v8
	v_mul_hi_u32 v13, v7, v9
	v_mul_lo_u32 v9, v7, v9
	v_mul_hi_u32 v14, v7, v8
	v_mul_lo_u32 v8, v7, v8
	v_add_co_u32 v10, vcc_lo, v10, v11
	v_add_co_ci_u32_e32 v11, vcc_lo, 0, v12, vcc_lo
	v_add_co_u32 v9, vcc_lo, v10, v9
	v_add_co_ci_u32_e32 v9, vcc_lo, v11, v13, vcc_lo
	v_add_co_ci_u32_e32 v10, vcc_lo, 0, v14, vcc_lo
	v_add_co_u32 v8, vcc_lo, v9, v8
	v_add_co_ci_u32_e32 v9, vcc_lo, 0, v10, vcc_lo
	v_add_co_u32 v4, vcc_lo, v4, v8
	v_add_co_ci_u32_e32 v11, vcc_lo, v7, v9, vcc_lo
	v_mul_hi_u32 v13, v5, v4
	v_mad_u64_u32 v[9:10], null, v6, v4, 0
	v_mad_u64_u32 v[7:8], null, v5, v11, 0
	;; [unrolled: 1-line block ×3, first 2 shown]
	v_add_co_u32 v4, vcc_lo, v13, v7
	v_add_co_ci_u32_e32 v7, vcc_lo, 0, v8, vcc_lo
	v_add_co_u32 v4, vcc_lo, v4, v9
	v_add_co_ci_u32_e32 v4, vcc_lo, v7, v10, vcc_lo
	v_add_co_ci_u32_e32 v7, vcc_lo, 0, v12, vcc_lo
	v_add_co_u32 v4, vcc_lo, v4, v11
	v_add_co_ci_u32_e32 v9, vcc_lo, 0, v7, vcc_lo
	v_mul_lo_u32 v10, s19, v4
	v_mad_u64_u32 v[7:8], null, s18, v4, 0
	v_mul_lo_u32 v11, s18, v9
	v_sub_co_u32 v7, vcc_lo, v5, v7
	v_add3_u32 v8, v8, v11, v10
	v_sub_nc_u32_e32 v10, v6, v8
	v_subrev_co_ci_u32_e64 v10, s0, s19, v10, vcc_lo
	v_add_co_u32 v11, s0, v4, 2
	v_add_co_ci_u32_e64 v12, s0, 0, v9, s0
	v_sub_co_u32 v13, s0, v7, s18
	v_sub_co_ci_u32_e32 v8, vcc_lo, v6, v8, vcc_lo
	v_subrev_co_ci_u32_e64 v10, s0, 0, v10, s0
	v_cmp_le_u32_e32 vcc_lo, s18, v13
	v_cmp_eq_u32_e64 s0, s19, v8
	v_cndmask_b32_e64 v13, 0, -1, vcc_lo
	v_cmp_le_u32_e32 vcc_lo, s19, v10
	v_cndmask_b32_e64 v14, 0, -1, vcc_lo
	v_cmp_le_u32_e32 vcc_lo, s18, v7
	;; [unrolled: 2-line block ×3, first 2 shown]
	v_cndmask_b32_e64 v15, 0, -1, vcc_lo
	v_cmp_eq_u32_e32 vcc_lo, s19, v10
	v_cndmask_b32_e64 v7, v15, v7, s0
	v_cndmask_b32_e32 v10, v14, v13, vcc_lo
	v_add_co_u32 v13, vcc_lo, v4, 1
	v_add_co_ci_u32_e32 v14, vcc_lo, 0, v9, vcc_lo
	v_cmp_ne_u32_e32 vcc_lo, 0, v10
	v_cndmask_b32_e32 v8, v14, v12, vcc_lo
	v_cndmask_b32_e32 v10, v13, v11, vcc_lo
	v_cmp_ne_u32_e32 vcc_lo, 0, v7
	v_cndmask_b32_e32 v8, v9, v8, vcc_lo
	v_cndmask_b32_e32 v7, v4, v10, vcc_lo
.LBB0_4:                                ;   in Loop: Header=BB0_2 Depth=1
	s_andn2_saveexec_b32 s0, s1
	s_cbranch_execz .LBB0_6
; %bb.5:                                ;   in Loop: Header=BB0_2 Depth=1
	v_cvt_f32_u32_e32 v4, s18
	s_sub_i32 s1, 0, s18
	v_rcp_iflag_f32_e32 v4, v4
	v_mul_f32_e32 v4, 0x4f7ffffe, v4
	v_cvt_u32_f32_e32 v4, v4
	v_mul_lo_u32 v7, s1, v4
	v_mul_hi_u32 v7, v4, v7
	v_add_nc_u32_e32 v4, v4, v7
	v_mul_hi_u32 v4, v5, v4
	v_mul_lo_u32 v7, v4, s18
	v_add_nc_u32_e32 v8, 1, v4
	v_sub_nc_u32_e32 v7, v5, v7
	v_subrev_nc_u32_e32 v9, s18, v7
	v_cmp_le_u32_e32 vcc_lo, s18, v7
	v_cndmask_b32_e32 v7, v7, v9, vcc_lo
	v_cndmask_b32_e32 v4, v4, v8, vcc_lo
	v_cmp_le_u32_e32 vcc_lo, s18, v7
	v_add_nc_u32_e32 v8, 1, v4
	v_cndmask_b32_e32 v7, v4, v8, vcc_lo
	v_mov_b32_e32 v8, v3
.LBB0_6:                                ;   in Loop: Header=BB0_2 Depth=1
	s_or_b32 exec_lo, exec_lo, s0
	s_load_dwordx2 s[0:1], s[6:7], 0x0
	v_mul_lo_u32 v4, v8, s18
	v_mul_lo_u32 v11, v7, s19
	v_mad_u64_u32 v[9:10], null, v7, s18, 0
	s_add_u32 s16, s16, 1
	s_addc_u32 s17, s17, 0
	s_add_u32 s6, s6, 8
	s_addc_u32 s7, s7, 0
	;; [unrolled: 2-line block ×3, first 2 shown]
	v_add3_u32 v4, v10, v11, v4
	v_sub_co_u32 v5, vcc_lo, v5, v9
	v_sub_co_ci_u32_e32 v4, vcc_lo, v6, v4, vcc_lo
	s_waitcnt lgkmcnt(0)
	v_mul_lo_u32 v6, s1, v5
	v_mul_lo_u32 v4, s0, v4
	v_mad_u64_u32 v[1:2], null, s0, v5, v[1:2]
	v_cmp_ge_u64_e64 s0, s[16:17], s[10:11]
	s_and_b32 vcc_lo, exec_lo, s0
	v_add3_u32 v2, v6, v2, v4
	s_cbranch_vccnz .LBB0_9
; %bb.7:                                ;   in Loop: Header=BB0_2 Depth=1
	v_mov_b32_e32 v5, v7
	v_mov_b32_e32 v6, v8
	s_branch .LBB0_2
.LBB0_8:
	v_mov_b32_e32 v8, v6
	v_mov_b32_e32 v7, v5
.LBB0_9:
	s_lshl_b64 s[0:1], s[10:11], 3
	v_mul_hi_u32 v5, 0x1f81f82, v0
	s_add_u32 s0, s12, s0
	s_addc_u32 s1, s13, s1
                                        ; implicit-def: $vgpr14_vgpr15
                                        ; implicit-def: $vgpr30_vgpr31
                                        ; implicit-def: $vgpr26_vgpr27
                                        ; implicit-def: $vgpr38_vgpr39
                                        ; implicit-def: $vgpr18_vgpr19
                                        ; implicit-def: $vgpr34_vgpr35
                                        ; implicit-def: $vgpr22_vgpr23
                                        ; implicit-def: $vgpr10_vgpr11
	s_load_dwordx2 s[0:1], s[0:1], 0x0
	s_load_dwordx2 s[4:5], s[4:5], 0x20
	s_waitcnt lgkmcnt(0)
	v_mul_lo_u32 v3, s0, v8
	v_mul_lo_u32 v4, s1, v7
	v_mad_u64_u32 v[1:2], null, s0, v7, v[1:2]
	v_cmp_gt_u64_e32 vcc_lo, s[4:5], v[7:8]
                                        ; implicit-def: $vgpr6_vgpr7
	v_add3_u32 v2, v4, v2, v3
	v_mul_u32_u24_e32 v3, 0x82, v5
	v_lshlrev_b64 v[54:55], 4, v[1:2]
	v_sub_nc_u32_e32 v52, v0, v3
                                        ; implicit-def: $vgpr2_vgpr3
	s_and_saveexec_b32 s1, vcc_lo
	s_cbranch_execz .LBB0_11
; %bb.10:
	v_mov_b32_e32 v53, 0
	v_add_co_u32 v2, s0, s2, v54
	v_add_co_ci_u32_e64 v3, s0, s3, v55, s0
	v_lshlrev_b64 v[0:1], 4, v[52:53]
	v_add_co_u32 v0, s0, v2, v0
	v_add_co_ci_u32_e64 v1, s0, v3, v1, s0
	v_add_co_u32 v2, s0, 0x800, v0
	v_add_co_ci_u32_e64 v3, s0, 0, v1, s0
	;; [unrolled: 2-line block ×4, first 2 shown]
	s_clause 0x3
	global_load_dwordx4 v[8:11], v[0:1], off
	global_load_dwordx4 v[20:23], v[2:3], off offset:32
	global_load_dwordx4 v[32:35], v[4:5], off offset:64
	;; [unrolled: 1-line block ×3, first 2 shown]
	v_add_co_u32 v2, s0, 0x2000, v0
	v_add_co_ci_u32_e64 v3, s0, 0, v1, s0
	v_add_co_u32 v4, s0, 0x2800, v0
	v_add_co_ci_u32_e64 v5, s0, 0, v1, s0
	;; [unrolled: 2-line block ×6, first 2 shown]
	s_clause 0x5
	global_load_dwordx4 v[36:39], v[2:3], off offset:128
	global_load_dwordx4 v[24:27], v[4:5], off offset:160
	;; [unrolled: 1-line block ×6, first 2 shown]
.LBB0_11:
	s_or_b32 exec_lo, exec_lo, s1
	s_waitcnt vmcnt(2)
	v_add_f64 v[40:41], v[12:13], v[24:25]
	s_waitcnt vmcnt(0)
	v_add_f64 v[46:47], v[0:1], v[16:17]
	v_add_f64 v[58:59], v[2:3], v[18:19]
	;; [unrolled: 1-line block ×5, first 2 shown]
	v_add_f64 v[82:83], v[18:19], -v[2:3]
	v_add_f64 v[86:87], v[26:27], -v[14:15]
	;; [unrolled: 1-line block ×3, first 2 shown]
	v_add_f64 v[88:89], v[18:19], v[22:23]
	v_add_f64 v[94:95], v[16:17], -v[0:1]
	s_mov_b32 s4, 0x134454ff
	s_mov_b32 s5, 0x3fee6f0e
	;; [unrolled: 1-line block ×4, first 2 shown]
	v_add_f64 v[48:49], v[28:29], v[36:37]
	v_add_f64 v[50:51], v[4:5], v[32:33]
	;; [unrolled: 1-line block ×4, first 2 shown]
	v_add_f64 v[62:63], v[34:35], -v[6:7]
	v_add_f64 v[66:67], v[32:33], -v[36:37]
	;; [unrolled: 1-line block ×3, first 2 shown]
	v_fma_f64 v[40:41], v[40:41], -0.5, v[20:21]
	v_fma_f64 v[46:47], v[46:47], -0.5, v[20:21]
	;; [unrolled: 1-line block ×4, first 2 shown]
	v_add_f64 v[70:71], v[34:35], -v[38:39]
	v_add_f64 v[34:35], v[38:39], -v[34:35]
	;; [unrolled: 1-line block ×4, first 2 shown]
	v_add_f64 v[20:21], v[16:17], v[20:21]
	v_add_f64 v[92:93], v[16:17], -v[24:25]
	v_add_f64 v[64:65], v[0:1], -v[12:13]
	v_add_f64 v[16:17], v[24:25], -v[16:17]
	v_add_f64 v[96:97], v[12:13], -v[0:1]
	v_add_f64 v[36:37], v[36:37], v[42:43]
	v_add_f64 v[38:39], v[38:39], v[44:45]
	v_add_f64 v[98:99], v[18:19], -v[26:27]
	v_add_f64 v[18:19], v[26:27], -v[18:19]
	;; [unrolled: 1-line block ×5, first 2 shown]
	s_mov_b32 s6, 0x4755a5e
	s_mov_b32 s7, 0x3fe2cf23
	v_fma_f64 v[42:43], v[82:83], s[4:5], v[40:41]
	v_fma_f64 v[40:41], v[82:83], s[0:1], v[40:41]
	;; [unrolled: 1-line block ×6, first 2 shown]
	s_mov_b32 s11, 0xbfe2cf23
	s_mov_b32 s10, s6
	v_add_f64 v[32:33], v[32:33], -v[4:5]
	v_add_f64 v[78:79], v[28:29], -v[4:5]
	;; [unrolled: 1-line block ×4, first 2 shown]
	v_fma_f64 v[48:49], v[48:49], -0.5, v[8:9]
	v_fma_f64 v[8:9], v[50:51], -0.5, v[8:9]
	;; [unrolled: 1-line block ×4, first 2 shown]
	v_add_f64 v[60:61], v[64:65], v[92:93]
	v_add_f64 v[16:17], v[96:97], v[16:17]
	;; [unrolled: 1-line block ×3, first 2 shown]
	v_fma_f64 v[22:23], v[94:95], s[0:1], v[22:23]
	v_add_f64 v[30:31], v[30:31], v[38:39]
	v_fma_f64 v[38:39], v[90:91], s[4:5], v[58:59]
	v_fma_f64 v[36:37], v[86:87], s[6:7], v[42:43]
	;; [unrolled: 1-line block ×5, first 2 shown]
	v_add_f64 v[18:19], v[102:103], v[18:19]
	v_fma_f64 v[64:65], v[94:95], s[6:7], v[104:105]
	v_add_f64 v[56:57], v[76:77], v[66:67]
	v_add_f64 v[44:45], v[44:45], v[98:99]
	v_fma_f64 v[66:67], v[90:91], s[6:7], v[106:107]
	s_mov_b32 s12, 0x372fe950
	v_add_f64 v[20:21], v[24:25], v[20:21]
	v_add_f64 v[24:25], v[26:27], v[88:89]
	s_mov_b32 s13, 0x3fd3c6ef
	v_fma_f64 v[58:59], v[62:63], s[4:5], v[48:49]
	v_fma_f64 v[48:49], v[62:63], s[0:1], v[48:49]
	;; [unrolled: 1-line block ×6, first 2 shown]
	v_add_f64 v[68:69], v[78:79], v[68:69]
	v_fma_f64 v[78:79], v[74:75], s[4:5], v[10:11]
	v_fma_f64 v[10:11], v[74:75], s[0:1], v[10:11]
	;; [unrolled: 1-line block ×9, first 2 shown]
	s_mov_b32 s14, 0x9b97f4a8
	v_fma_f64 v[64:65], v[44:45], s[12:13], v[66:67]
	s_mov_b32 s15, 0x3fe9e377
	v_add_f64 v[12:13], v[12:13], v[20:21]
	v_add_f64 v[14:15], v[14:15], v[24:25]
	;; [unrolled: 1-line block ×3, first 2 shown]
	v_fma_f64 v[58:59], v[72:73], s[6:7], v[58:59]
	v_fma_f64 v[48:49], v[72:73], s[10:11], v[48:49]
	v_fma_f64 v[66:67], v[62:63], s[6:7], v[76:77]
	v_fma_f64 v[8:9], v[62:63], s[10:11], v[8:9]
	v_fma_f64 v[20:21], v[74:75], s[10:11], v[26:27]
	v_fma_f64 v[24:25], v[74:75], s[6:7], v[50:51]
	v_add_f64 v[26:27], v[84:85], v[34:35]
	v_fma_f64 v[34:35], v[32:33], s[10:11], v[78:79]
	v_fma_f64 v[10:11], v[32:33], s[6:7], v[10:11]
	;; [unrolled: 1-line block ×4, first 2 shown]
	v_mul_f64 v[32:33], v[36:37], s[14:15]
	v_mul_f64 v[38:39], v[42:43], s[12:13]
	;; [unrolled: 1-line block ×8, first 2 shown]
	v_add_f64 v[4:5], v[4:5], v[28:29]
	v_add_f64 v[6:7], v[6:7], v[30:31]
	;; [unrolled: 1-line block ×4, first 2 shown]
	v_fma_f64 v[30:31], v[56:57], s[12:13], v[58:59]
	v_fma_f64 v[48:49], v[56:57], s[12:13], v[48:49]
	;; [unrolled: 1-line block ×8, first 2 shown]
	v_and_b32_e32 v0, 0xff, v52
	v_mov_b32_e32 v53, 4
	v_fma_f64 v[32:33], v[22:23], s[6:7], v[32:33]
	v_fma_f64 v[34:35], v[18:19], s[4:5], v[38:39]
	v_fma_f64 v[38:39], v[60:61], s[4:5], -v[44:45]
	v_fma_f64 v[44:45], v[64:65], s[6:7], -v[50:51]
	v_fma_f64 v[50:51], v[22:23], s[14:15], v[36:37]
	v_fma_f64 v[42:43], v[18:19], s[12:13], v[42:43]
	v_fma_f64 v[60:61], v[16:17], s[0:1], -v[62:63]
	v_fma_f64 v[62:63], v[40:41], s[10:11], -v[70:71]
	v_mul_lo_u16 v0, 0xcd, v0
	v_add_f64 v[2:3], v[14:15], v[6:7]
	v_add_f64 v[6:7], v[6:7], -v[14:15]
	v_lshrrev_b16 v13, 11, v0
	v_add_f64 v[0:1], v[28:29], v[4:5]
	v_add_f64 v[4:5], v[4:5], -v[28:29]
	v_mul_lo_u16 v12, v13, 10
	v_add_f64 v[8:9], v[30:31], v[32:33]
	v_add_f64 v[15:16], v[56:57], v[34:35]
	;; [unrolled: 1-line block ×8, first 2 shown]
	v_add_f64 v[27:28], v[30:31], -v[32:33]
	v_add_f64 v[31:32], v[56:57], -v[34:35]
	;; [unrolled: 1-line block ×8, first 2 shown]
	v_mul_u32_u24_e32 v43, 10, v52
	v_mov_b32_e32 v44, 9
	v_sub_nc_u16 v14, v52, v12
	v_lshl_add_u32 v12, v43, 4, 0
	ds_write_b128 v12, v[0:3]
	ds_write_b128 v12, v[4:7] offset:80
	ds_write_b128 v12, v[8:11] offset:16
	;; [unrolled: 1-line block ×8, first 2 shown]
	v_mul_u32_u24_sdwa v43, v14, v44 dst_sel:DWORD dst_unused:UNUSED_PAD src0_sel:BYTE_0 src1_sel:DWORD
	v_mad_i32_i24 v51, 0xffffff70, v52, v12
	v_lshlrev_b32_sdwa v14, v53, v14 dst_sel:DWORD dst_unused:UNUSED_PAD src0_sel:DWORD src1_sel:BYTE_0
	ds_write_b128 v12, v[39:42] offset:144
	v_lshlrev_b32_e32 v35, 4, v43
	s_waitcnt lgkmcnt(0)
	s_barrier
	buffer_gl0_inv
	s_clause 0x8
	global_load_dwordx4 v[0:3], v35, s[8:9] offset:32
	global_load_dwordx4 v[4:7], v35, s[8:9] offset:64
	;; [unrolled: 1-line block ×4, first 2 shown]
	global_load_dwordx4 v[19:22], v35, s[8:9]
	global_load_dwordx4 v[23:26], v35, s[8:9] offset:16
	global_load_dwordx4 v[27:30], v35, s[8:9] offset:48
	;; [unrolled: 1-line block ×4, first 2 shown]
	ds_read_b128 v[39:42], v51 offset:6240
	ds_read_b128 v[43:46], v51 offset:10400
	;; [unrolled: 1-line block ×9, first 2 shown]
	ds_read_b128 v[80:83], v51
	s_waitcnt vmcnt(0) lgkmcnt(0)
	s_barrier
	buffer_gl0_inv
	v_mul_f64 v[84:85], v[41:42], v[2:3]
	v_mul_f64 v[2:3], v[39:40], v[2:3]
	;; [unrolled: 1-line block ×16, first 2 shown]
	v_fma_f64 v[39:40], v[39:40], v[0:1], -v[84:85]
	v_fma_f64 v[0:1], v[41:42], v[0:1], v[2:3]
	v_fma_f64 v[2:3], v[43:44], v[4:5], -v[86:87]
	v_fma_f64 v[4:5], v[45:46], v[4:5], v[6:7]
	v_fma_f64 v[6:7], v[49:50], v[8:9], v[88:89]
	;; [unrolled: 1-line block ×3, first 2 shown]
	v_fma_f64 v[15:16], v[56:57], v[15:16], -v[17:18]
	v_fma_f64 v[8:9], v[47:48], v[8:9], -v[10:11]
	v_mul_f64 v[10:11], v[72:73], v[33:34]
	v_mul_f64 v[17:18], v[76:77], v[37:38]
	v_fma_f64 v[33:34], v[64:65], v[23:24], -v[94:95]
	v_fma_f64 v[47:48], v[60:61], v[19:20], -v[92:93]
	;; [unrolled: 1-line block ×3, first 2 shown]
	v_fma_f64 v[19:20], v[62:63], v[19:20], v[21:22]
	v_fma_f64 v[21:22], v[66:67], v[23:24], v[25:26]
	;; [unrolled: 1-line block ×3, first 2 shown]
	v_fma_f64 v[43:44], v[72:73], v[31:32], -v[98:99]
	v_fma_f64 v[45:46], v[76:77], v[35:36], -v[100:101]
	v_add_f64 v[88:89], v[39:40], -v[2:3]
	v_add_f64 v[92:93], v[2:3], -v[39:40]
	v_add_f64 v[25:26], v[4:5], v[6:7]
	v_add_f64 v[27:28], v[0:1], v[41:42]
	;; [unrolled: 1-line block ×4, first 2 shown]
	v_fma_f64 v[10:11], v[74:75], v[31:32], v[10:11]
	v_fma_f64 v[17:18], v[78:79], v[35:36], v[17:18]
	v_add_f64 v[56:57], v[2:3], -v[8:9]
	v_add_f64 v[58:59], v[4:5], -v[6:7]
	;; [unrolled: 1-line block ×6, first 2 shown]
	v_add_f64 v[31:32], v[37:38], v[43:44]
	v_add_f64 v[35:36], v[33:34], v[45:46]
	v_add_f64 v[96:97], v[0:1], -v[4:5]
	v_add_f64 v[98:99], v[41:42], -v[6:7]
	;; [unrolled: 1-line block ×6, first 2 shown]
	v_add_f64 v[72:73], v[80:81], v[33:34]
	v_add_f64 v[74:75], v[82:83], v[21:22]
	v_fma_f64 v[25:26], v[25:26], -0.5, v[19:20]
	v_fma_f64 v[27:28], v[27:28], -0.5, v[19:20]
	;; [unrolled: 1-line block ×4, first 2 shown]
	v_add_f64 v[64:65], v[23:24], v[10:11]
	v_add_f64 v[66:67], v[21:22], v[17:18]
	v_add_f64 v[76:77], v[37:38], -v[33:34]
	v_add_f64 v[84:85], v[21:22], -v[23:24]
	;; [unrolled: 1-line block ×5, first 2 shown]
	v_add_f64 v[39:40], v[47:48], v[39:40]
	v_add_f64 v[0:1], v[19:20], v[0:1]
	v_add_f64 v[19:20], v[33:34], -v[45:46]
	v_add_f64 v[21:22], v[21:22], -v[17:18]
	v_fma_f64 v[31:32], v[31:32], -0.5, v[80:81]
	v_fma_f64 v[33:34], v[35:36], -0.5, v[80:81]
	v_add_f64 v[47:48], v[88:89], v[90:91]
	v_add_f64 v[80:81], v[96:97], v[98:99]
	;; [unrolled: 1-line block ×3, first 2 shown]
	v_add_f64 v[78:79], v[43:44], -v[45:46]
	v_add_f64 v[86:87], v[17:18], -v[10:11]
	v_fma_f64 v[104:105], v[60:61], s[0:1], v[25:26]
	v_fma_f64 v[106:107], v[56:57], s[4:5], v[27:28]
	;; [unrolled: 1-line block ×8, first 2 shown]
	v_fma_f64 v[35:36], v[64:65], -0.5, v[82:83]
	v_add_f64 v[64:65], v[92:93], v[94:95]
	v_fma_f64 v[66:67], v[66:67], -0.5, v[82:83]
	v_add_f64 v[82:83], v[10:11], -v[17:18]
	v_add_f64 v[37:38], v[72:73], v[37:38]
	v_add_f64 v[23:24], v[74:75], v[23:24]
	;; [unrolled: 1-line block ×4, first 2 shown]
	v_fma_f64 v[4:5], v[21:22], s[4:5], v[31:32]
	v_fma_f64 v[31:32], v[21:22], s[0:1], v[31:32]
	;; [unrolled: 1-line block ×12, first 2 shown]
	v_add_f64 v[56:57], v[68:69], v[70:71]
	v_fma_f64 v[60:61], v[19:20], s[0:1], v[35:36]
	v_fma_f64 v[35:36], v[19:20], s[4:5], v[35:36]
	;; [unrolled: 1-line block ×4, first 2 shown]
	v_add_f64 v[58:59], v[76:77], v[78:79]
	v_add_f64 v[37:38], v[37:38], v[43:44]
	;; [unrolled: 1-line block ×5, first 2 shown]
	v_fma_f64 v[4:5], v[116:117], s[6:7], v[4:5]
	v_fma_f64 v[6:7], v[116:117], s[10:11], v[31:32]
	;; [unrolled: 1-line block ×12, first 2 shown]
	v_add_f64 v[49:50], v[84:85], v[86:87]
	v_add_f64 v[64:65], v[112:113], v[82:83]
	v_fma_f64 v[23:24], v[114:115], s[10:11], v[60:61]
	v_fma_f64 v[31:32], v[114:115], s[6:7], v[35:36]
	;; [unrolled: 1-line block ×4, first 2 shown]
	v_add_f64 v[37:38], v[37:38], v[45:46]
	v_add_f64 v[10:11], v[10:11], v[17:18]
	;; [unrolled: 1-line block ×4, first 2 shown]
	v_fma_f64 v[41:42], v[56:57], s[12:13], v[4:5]
	v_fma_f64 v[56:57], v[56:57], s[12:13], v[6:7]
	;; [unrolled: 1-line block ×4, first 2 shown]
	v_mul_f64 v[33:34], v[62:63], s[6:7]
	v_mul_f64 v[35:36], v[68:69], s[4:5]
	;; [unrolled: 1-line block ×8, first 2 shown]
	v_fma_f64 v[6:7], v[49:50], s[12:13], v[23:24]
	v_fma_f64 v[23:24], v[49:50], s[12:13], v[31:32]
	;; [unrolled: 1-line block ×3, first 2 shown]
	v_add_f64 v[0:1], v[37:38], v[15:16]
	v_add_f64 v[2:3], v[10:11], v[17:18]
	v_fma_f64 v[49:50], v[72:73], s[14:15], v[33:34]
	v_fma_f64 v[58:59], v[29:30], s[12:13], v[35:36]
	v_fma_f64 v[72:73], v[27:28], s[4:5], -v[39:40]
	v_fma_f64 v[27:28], v[62:63], s[14:15], v[43:44]
	v_fma_f64 v[62:63], v[64:65], s[12:13], v[19:20]
	v_fma_f64 v[25:26], v[25:26], s[6:7], -v[66:67]
	v_fma_f64 v[64:65], v[68:69], s[12:13], v[74:75]
	v_fma_f64 v[66:67], v[70:71], s[0:1], -v[76:77]
	v_fma_f64 v[68:69], v[47:48], s[10:11], -v[78:79]
	v_add_f64 v[32:33], v[37:38], -v[15:16]
	v_add_f64 v[34:35], v[10:11], -v[17:18]
	v_mov_b32_e32 v20, 0x640
	v_cmp_gt_u32_e64 s0, 0x64, v52
	v_mul_u32_u24_sdwa v13, v13, v20 dst_sel:DWORD dst_unused:UNUSED_PAD src0_sel:WORD_0 src1_sel:DWORD
	v_add3_u32 v13, 0, v13, v14
	v_add_f64 v[8:9], v[41:42], v[49:50]
	v_add_f64 v[4:5], v[45:46], v[58:59]
	;; [unrolled: 1-line block ×4, first 2 shown]
	v_add_f64 v[36:37], v[41:42], -v[49:50]
	v_add_f64 v[38:39], v[6:7], -v[27:28]
	v_add_f64 v[28:29], v[56:57], v[25:26]
	v_add_f64 v[6:7], v[60:61], v[64:65]
	;; [unrolled: 1-line block ×4, first 2 shown]
	v_add_f64 v[48:49], v[45:46], -v[58:59]
	v_add_f64 v[44:45], v[21:22], -v[72:73]
	v_add_f64 v[40:41], v[56:57], -v[25:26]
	v_add_f64 v[50:51], v[60:61], -v[64:65]
	v_add_f64 v[46:47], v[62:63], -v[66:67]
	v_add_f64 v[42:43], v[23:24], -v[68:69]
	ds_write_b128 v13, v[0:3]
	ds_write_b128 v13, v[32:35] offset:800
	ds_write_b128 v13, v[8:11] offset:160
	ds_write_b128 v13, v[4:7] offset:320
	ds_write_b128 v13, v[16:19] offset:480
	ds_write_b128 v13, v[28:31] offset:640
	ds_write_b128 v13, v[36:39] offset:960
	ds_write_b128 v13, v[48:51] offset:1120
	ds_write_b128 v13, v[44:47] offset:1280
	ds_write_b128 v13, v[40:43] offset:1440
	s_waitcnt lgkmcnt(0)
	s_barrier
	buffer_gl0_inv
                                        ; implicit-def: $vgpr22_vgpr23
                                        ; implicit-def: $vgpr14_vgpr15
                                        ; implicit-def: $vgpr26_vgpr27
	s_and_saveexec_b32 s1, s0
	s_cbranch_execnz .LBB0_14
; %bb.12:
	s_or_b32 exec_lo, exec_lo, s1
	s_and_b32 s0, vcc_lo, s0
	s_and_saveexec_b32 s1, s0
	s_cbranch_execnz .LBB0_15
.LBB0_13:
	s_endpgm
.LBB0_14:
	v_mul_i32_i24_e32 v0, 0xffffff70, v52
	v_add_nc_u32_e32 v20, v12, v0
	ds_read_b128 v[0:3], v20
	ds_read_b128 v[8:11], v20 offset:1600
	ds_read_b128 v[4:7], v20 offset:3200
	;; [unrolled: 1-line block ×12, first 2 shown]
	s_or_b32 exec_lo, exec_lo, s1
	s_and_b32 s0, vcc_lo, s0
	s_and_saveexec_b32 s1, s0
	s_cbranch_execz .LBB0_13
.LBB0_15:
	v_mul_u32_u24_e32 v53, 12, v52
	s_mov_b32 s6, 0x1ea71119
	s_mov_b32 s7, 0x3fe22d96
	;; [unrolled: 1-line block ×4, first 2 shown]
	v_lshlrev_b32_e32 v53, 4, v53
	s_mov_b32 s4, 0x2ef20147
	s_mov_b32 s5, 0x3fedeba7
	;; [unrolled: 1-line block ×4, first 2 shown]
	s_clause 0x1
	global_load_dwordx4 v[58:61], v53, s[8:9] offset:1520
	global_load_dwordx4 v[62:65], v53, s[8:9] offset:1504
	s_mov_b32 s12, 0x93053d00
	s_mov_b32 s13, 0xbfef11f4
	;; [unrolled: 1-line block ×22, first 2 shown]
	v_add_co_u32 v54, vcc_lo, s2, v54
	v_add_co_ci_u32_e32 v55, vcc_lo, s3, v55, vcc_lo
	s_mov_b32 s3, 0xbfe5384d
	s_mov_b32 s2, s20
	;; [unrolled: 1-line block ×3, first 2 shown]
	s_waitcnt vmcnt(1) lgkmcnt(6)
	v_mul_f64 v[56:57], v[38:39], v[58:59]
	v_mul_f64 v[38:39], v[38:39], v[60:61]
	v_fma_f64 v[56:57], v[36:37], v[60:61], v[56:57]
	v_fma_f64 v[36:37], v[36:37], v[58:59], -v[38:39]
	s_clause 0x1
	global_load_dwordx4 v[58:61], v53, s[8:9] offset:1536
	global_load_dwordx4 v[66:69], v53, s[8:9] offset:1552
	s_waitcnt vmcnt(1) lgkmcnt(5)
	v_mul_f64 v[38:39], v[50:51], v[58:59]
	v_mul_f64 v[50:51], v[50:51], v[60:61]
	v_fma_f64 v[38:39], v[48:49], v[60:61], v[38:39]
	v_fma_f64 v[48:49], v[48:49], v[58:59], -v[50:51]
	v_mul_f64 v[50:51], v[34:35], v[62:63]
	v_mul_f64 v[34:35], v[34:35], v[64:65]
	v_add_f64 v[128:129], v[56:57], -v[38:39]
	v_add_f64 v[130:131], v[36:37], v[48:49]
	v_fma_f64 v[50:51], v[32:33], v[64:65], v[50:51]
	v_fma_f64 v[34:35], v[32:33], v[62:63], -v[34:35]
	s_waitcnt vmcnt(0) lgkmcnt(4)
	v_mul_f64 v[32:33], v[46:47], v[66:67]
	v_mul_f64 v[46:47], v[46:47], v[68:69]
	s_clause 0x1
	global_load_dwordx4 v[58:61], v53, s[8:9] offset:1488
	global_load_dwordx4 v[62:65], v53, s[8:9] offset:1472
	v_mul_f64 v[132:133], v[128:129], s[34:35]
	v_mul_f64 v[156:157], v[128:129], s[2:3]
	;; [unrolled: 1-line block ×4, first 2 shown]
	v_fma_f64 v[32:33], v[44:45], v[68:69], v[32:33]
	v_fma_f64 v[44:45], v[44:45], v[66:67], -v[46:47]
	s_clause 0x1
	global_load_dwordx4 v[66:69], v53, s[8:9] offset:1568
	global_load_dwordx4 v[70:73], v53, s[8:9] offset:1584
	s_waitcnt vmcnt(3)
	v_mul_f64 v[46:47], v[30:31], v[58:59]
	v_mul_f64 v[30:31], v[30:31], v[60:61]
	v_fma_f64 v[46:47], v[28:29], v[60:61], v[46:47]
	v_fma_f64 v[58:59], v[28:29], v[58:59], -v[30:31]
	s_waitcnt vmcnt(1) lgkmcnt(3)
	v_mul_f64 v[28:29], v[42:43], v[66:67]
	v_mul_f64 v[30:31], v[42:43], v[68:69]
	v_fma_f64 v[28:29], v[40:41], v[68:69], v[28:29]
	v_fma_f64 v[30:31], v[40:41], v[66:67], -v[30:31]
	v_mul_f64 v[40:41], v[18:19], v[62:63]
	v_mul_f64 v[18:19], v[18:19], v[64:65]
	v_fma_f64 v[40:41], v[16:17], v[64:65], v[40:41]
	v_fma_f64 v[16:17], v[16:17], v[62:63], -v[18:19]
	s_clause 0x1
	global_load_dwordx4 v[60:63], v53, s[8:9] offset:1440
	global_load_dwordx4 v[64:67], v53, s[8:9] offset:1456
	s_waitcnt vmcnt(2) lgkmcnt(2)
	v_mul_f64 v[18:19], v[26:27], v[70:71]
	v_mul_f64 v[26:27], v[26:27], v[72:73]
	v_fma_f64 v[18:19], v[24:25], v[72:73], v[18:19]
	v_fma_f64 v[24:25], v[24:25], v[70:71], -v[26:27]
	s_waitcnt vmcnt(1)
	v_mul_f64 v[26:27], v[10:11], v[60:61]
	v_mul_f64 v[10:11], v[10:11], v[62:63]
	v_fma_f64 v[26:27], v[8:9], v[62:63], v[26:27]
	v_fma_f64 v[42:43], v[8:9], v[60:61], -v[10:11]
	s_clause 0x1
	global_load_dwordx4 v[60:63], v53, s[8:9] offset:1616
	global_load_dwordx4 v[68:71], v53, s[8:9] offset:1600
	s_mov_b32 s8, 0x42a4c3d2
	s_mov_b32 s9, 0xbfea55e2
	v_mov_b32_e32 v53, 0
	s_mov_b32 s36, s8
	v_mul_f64 v[180:181], v[128:129], s[36:37]
	v_lshlrev_b64 v[52:53], 4, v[52:53]
	s_waitcnt vmcnt(1) lgkmcnt(0)
	v_mul_f64 v[8:9], v[22:23], v[60:61]
	v_mul_f64 v[10:11], v[22:23], v[62:63]
	v_fma_f64 v[8:9], v[20:21], v[62:63], v[8:9]
	v_fma_f64 v[10:11], v[20:21], v[60:61], -v[10:11]
	v_mul_f64 v[20:21], v[6:7], v[64:65]
	v_mul_f64 v[6:7], v[6:7], v[66:67]
	v_add_f64 v[116:117], v[26:27], -v[8:9]
	v_add_f64 v[60:61], v[42:43], -v[10:11]
	v_fma_f64 v[20:21], v[4:5], v[66:67], v[20:21]
	v_fma_f64 v[4:5], v[4:5], v[64:65], -v[6:7]
	s_waitcnt vmcnt(0)
	v_mul_f64 v[6:7], v[14:15], v[68:69]
	v_add_f64 v[64:65], v[26:27], v[8:9]
	v_mul_f64 v[14:15], v[14:15], v[70:71]
	v_add_f64 v[112:113], v[42:43], v[10:11]
	v_add_f64 v[42:43], v[0:1], v[42:43]
	;; [unrolled: 1-line block ×3, first 2 shown]
	v_mul_f64 v[114:115], v[116:117], s[8:9]
	v_mul_f64 v[138:139], v[116:117], s[26:27]
	;; [unrolled: 1-line block ×4, first 2 shown]
	v_fma_f64 v[6:7], v[12:13], v[70:71], v[6:7]
	v_mul_f64 v[62:63], v[64:65], s[6:7]
	v_fma_f64 v[12:13], v[12:13], v[68:69], -v[14:15]
	v_mul_f64 v[134:135], v[64:65], s[22:23]
	v_mul_f64 v[158:159], v[64:65], s[0:1]
	;; [unrolled: 1-line block ×3, first 2 shown]
	v_add_f64 v[22:23], v[20:21], v[6:7]
	v_fma_f64 v[14:15], v[60:61], s[8:9], v[62:63]
	v_add_f64 v[72:73], v[20:21], -v[6:7]
	v_fma_f64 v[62:63], v[60:61], s[36:37], v[62:63]
	v_mul_f64 v[66:67], v[22:23], s[0:1]
	v_add_f64 v[68:69], v[2:3], v[14:15]
	v_add_f64 v[14:15], v[4:5], -v[12:13]
	v_mul_f64 v[80:81], v[72:73], s[10:11]
	v_mul_f64 v[136:137], v[22:23], s[12:13]
	;; [unrolled: 1-line block ×7, first 2 shown]
	v_fma_f64 v[70:71], v[14:15], s[10:11], v[66:67]
	v_add_f64 v[76:77], v[70:71], v[68:69]
	v_fma_f64 v[68:69], v[112:113], s[6:7], -v[114:115]
	v_fma_f64 v[114:115], v[112:113], s[6:7], v[114:115]
	v_add_f64 v[70:71], v[0:1], v[68:69]
	v_add_f64 v[68:69], v[4:5], v[12:13]
	;; [unrolled: 1-line block ×4, first 2 shown]
	v_fma_f64 v[74:75], v[68:69], s[0:1], -v[80:81]
	v_fma_f64 v[190:191], v[68:69], s[22:23], -v[188:189]
	v_add_f64 v[4:5], v[16:17], v[4:5]
	v_add_f64 v[78:79], v[74:75], v[70:71]
	;; [unrolled: 1-line block ×3, first 2 shown]
	v_add_f64 v[70:71], v[16:17], -v[24:25]
	v_add_f64 v[4:5], v[58:59], v[4:5]
	v_mul_f64 v[82:83], v[74:75], s[12:13]
	v_mul_f64 v[142:143], v[74:75], s[0:1]
	;; [unrolled: 1-line block ×3, first 2 shown]
	v_add_f64 v[4:5], v[34:35], v[4:5]
	v_fma_f64 v[84:85], v[70:71], s[16:17], v[82:83]
	v_add_f64 v[4:5], v[36:37], v[4:5]
	v_add_f64 v[88:89], v[84:85], v[76:77]
	v_add_f64 v[84:85], v[40:41], -v[18:19]
	v_add_f64 v[76:77], v[16:17], v[24:25]
	v_add_f64 v[4:5], v[48:49], v[4:5]
	v_mul_f64 v[92:93], v[84:85], s[16:17]
	v_mul_f64 v[144:145], v[84:85], s[4:5]
	;; [unrolled: 1-line block ×3, first 2 shown]
	v_add_f64 v[4:5], v[44:45], v[4:5]
	v_fma_f64 v[86:87], v[76:77], s[12:13], -v[92:93]
	v_add_f64 v[4:5], v[30:31], v[4:5]
	v_add_f64 v[90:91], v[86:87], v[78:79]
	;; [unrolled: 1-line block ×3, first 2 shown]
	v_add_f64 v[78:79], v[58:59], -v[30:31]
	v_add_f64 v[4:5], v[24:25], v[4:5]
	v_mul_f64 v[94:95], v[86:87], s[18:19]
	v_mul_f64 v[146:147], v[86:87], s[28:29]
	v_mul_f64 v[170:171], v[86:87], s[22:23]
	v_add_f64 v[4:5], v[12:13], v[4:5]
	v_fma_f64 v[96:97], v[78:79], s[20:21], v[94:95]
	v_add_f64 v[4:5], v[10:11], v[4:5]
	v_add_f64 v[100:101], v[96:97], v[88:89]
	v_add_f64 v[96:97], v[46:47], -v[28:29]
	v_add_f64 v[88:89], v[58:59], v[30:31]
	v_mul_f64 v[102:103], v[96:97], s[20:21]
	v_mul_f64 v[148:149], v[96:97], s[34:35]
	;; [unrolled: 1-line block ×3, first 2 shown]
	v_fma_f64 v[98:99], v[88:89], s[18:19], -v[102:103]
	v_add_f64 v[104:105], v[98:99], v[90:91]
	v_add_f64 v[98:99], v[50:51], v[32:33]
	v_add_f64 v[90:91], v[34:35], -v[44:45]
	v_mul_f64 v[106:107], v[98:99], s[22:23]
	v_mul_f64 v[150:151], v[98:99], s[6:7]
	;; [unrolled: 1-line block ×3, first 2 shown]
	v_fma_f64 v[108:109], v[90:91], s[24:25], v[106:107]
	v_add_f64 v[122:123], v[108:109], v[100:101]
	v_add_f64 v[108:109], v[50:51], -v[32:33]
	v_add_f64 v[100:101], v[34:35], v[44:45]
	v_mul_f64 v[118:119], v[108:109], s[24:25]
	v_mul_f64 v[152:153], v[108:109], s[8:9]
	;; [unrolled: 1-line block ×3, first 2 shown]
	v_fma_f64 v[110:111], v[100:101], s[22:23], -v[118:119]
	v_add_f64 v[126:127], v[110:111], v[104:105]
	v_add_f64 v[110:111], v[56:57], v[38:39]
	v_add_f64 v[104:105], v[36:37], -v[48:49]
	v_mul_f64 v[120:121], v[110:111], s[28:29]
	v_mul_f64 v[154:155], v[110:111], s[18:19]
	;; [unrolled: 1-line block ×5, first 2 shown]
	v_fma_f64 v[124:125], v[104:105], s[34:35], v[120:121]
	v_add_f64 v[124:125], v[124:125], v[122:123]
	v_fma_f64 v[122:123], v[130:131], s[28:29], -v[132:133]
	v_add_f64 v[122:123], v[122:123], v[126:127]
	v_add_co_u32 v126, vcc_lo, v54, v52
	v_add_co_ci_u32_e32 v127, vcc_lo, v55, v53, vcc_lo
	v_fma_f64 v[54:55], v[14:15], s[16:17], v[136:137]
	v_add_co_u32 v52, vcc_lo, 0x800, v126
	v_add_co_ci_u32_e32 v53, vcc_lo, 0, v127, vcc_lo
	global_store_dwordx4 v[52:53], v[122:125], off offset:1152
	v_fma_f64 v[52:53], v[60:61], s[26:27], v[134:135]
	v_fma_f64 v[122:123], v[68:69], s[12:13], -v[140:141]
	v_fma_f64 v[124:125], v[14:15], s[24:25], v[184:185]
	v_fma_f64 v[134:135], v[60:61], s[24:25], v[134:135]
	v_add_f64 v[52:53], v[2:3], v[52:53]
	v_add_f64 v[134:135], v[2:3], v[134:135]
	;; [unrolled: 1-line block ×3, first 2 shown]
	v_fma_f64 v[54:55], v[112:113], s[22:23], -v[138:139]
	v_fma_f64 v[138:139], v[112:113], s[22:23], v[138:139]
	v_add_f64 v[54:55], v[0:1], v[54:55]
	v_add_f64 v[138:139], v[0:1], v[138:139]
	;; [unrolled: 1-line block ×3, first 2 shown]
	v_fma_f64 v[122:123], v[70:71], s[4:5], v[142:143]
	v_add_f64 v[52:53], v[122:123], v[52:53]
	v_fma_f64 v[122:123], v[76:77], s[0:1], -v[144:145]
	v_add_f64 v[54:55], v[122:123], v[54:55]
	v_fma_f64 v[122:123], v[78:79], s[34:35], v[146:147]
	v_add_f64 v[52:53], v[122:123], v[52:53]
	v_fma_f64 v[122:123], v[88:89], s[28:29], -v[148:149]
	v_add_f64 v[54:55], v[122:123], v[54:55]
	;; [unrolled: 4-line block ×4, first 2 shown]
	v_add_co_u32 v122, vcc_lo, 0x1000, v126
	v_add_co_ci_u32_e32 v123, vcc_lo, 0, v127, vcc_lo
	global_store_dwordx4 v[122:123], v[52:55], off offset:704
	v_fma_f64 v[52:53], v[60:61], s[10:11], v[158:159]
	v_fma_f64 v[54:55], v[14:15], s[20:21], v[160:161]
	v_fma_f64 v[122:123], v[68:69], s[18:19], -v[164:165]
	v_add_f64 v[52:53], v[2:3], v[52:53]
	v_add_f64 v[52:53], v[54:55], v[52:53]
	v_fma_f64 v[54:55], v[112:113], s[0:1], -v[162:163]
	v_fma_f64 v[162:163], v[112:113], s[0:1], v[162:163]
	v_add_f64 v[54:55], v[0:1], v[54:55]
	v_add_f64 v[162:163], v[0:1], v[162:163]
	;; [unrolled: 1-line block ×3, first 2 shown]
	v_fma_f64 v[122:123], v[70:71], s[34:35], v[166:167]
	v_add_f64 v[52:53], v[122:123], v[52:53]
	v_fma_f64 v[122:123], v[76:77], s[28:29], -v[168:169]
	v_add_f64 v[54:55], v[122:123], v[54:55]
	v_fma_f64 v[122:123], v[78:79], s[26:27], v[170:171]
	v_add_f64 v[52:53], v[122:123], v[52:53]
	v_fma_f64 v[122:123], v[88:89], s[22:23], -v[172:173]
	v_add_f64 v[54:55], v[122:123], v[54:55]
	;; [unrolled: 4-line block ×4, first 2 shown]
	v_fma_f64 v[122:123], v[60:61], s[2:3], v[182:183]
	v_add_f64 v[122:123], v[2:3], v[122:123]
	v_add_f64 v[122:123], v[124:125], v[122:123]
	v_fma_f64 v[124:125], v[112:113], s[18:19], -v[186:187]
	v_fma_f64 v[186:187], v[112:113], s[18:19], v[186:187]
	v_add_f64 v[124:125], v[0:1], v[124:125]
	v_add_f64 v[124:125], v[190:191], v[124:125]
	v_mul_f64 v[190:191], v[74:75], s[6:7]
	v_fma_f64 v[192:193], v[70:71], s[8:9], v[190:191]
	v_add_f64 v[122:123], v[192:193], v[122:123]
	v_mul_f64 v[192:193], v[84:85], s[8:9]
	v_fma_f64 v[194:195], v[76:77], s[6:7], -v[192:193]
	v_add_f64 v[124:125], v[194:195], v[124:125]
	v_mul_f64 v[194:195], v[86:87], s[12:13]
	v_fma_f64 v[196:197], v[78:79], s[14:15], v[194:195]
	v_add_f64 v[122:123], v[196:197], v[122:123]
	v_mul_f64 v[196:197], v[96:97], s[14:15]
	v_fma_f64 v[198:199], v[88:89], s[12:13], -v[196:197]
	;; [unrolled: 6-line block ×3, first 2 shown]
	v_add_f64 v[202:203], v[202:203], v[124:125]
	v_fma_f64 v[124:125], v[104:105], s[10:11], v[204:205]
	v_add_f64 v[124:125], v[124:125], v[122:123]
	v_fma_f64 v[122:123], v[130:131], s[0:1], -v[206:207]
	v_add_f64 v[122:123], v[122:123], v[202:203]
	v_add_co_u32 v202, vcc_lo, 0x1800, v126
	v_add_co_ci_u32_e32 v203, vcc_lo, 0, v127, vcc_lo
	global_store_dwordx4 v[202:203], v[52:55], off offset:256
	global_store_dwordx4 v[202:203], v[122:125], off offset:1856
	v_mul_f64 v[52:53], v[64:65], s[12:13]
	v_mul_f64 v[54:55], v[64:65], s[28:29]
	v_fma_f64 v[122:123], v[60:61], s[20:21], v[182:183]
	v_fma_f64 v[124:125], v[60:61], s[4:5], v[158:159]
	v_add_co_u32 v12, vcc_lo, 0x2000, v126
	v_add_co_ci_u32_e32 v13, vcc_lo, 0, v127, vcc_lo
	v_fma_f64 v[64:65], v[60:61], s[14:15], v[52:53]
	v_fma_f64 v[52:53], v[60:61], s[16:17], v[52:53]
	;; [unrolled: 1-line block ×4, first 2 shown]
	v_mul_f64 v[60:61], v[116:117], s[16:17]
	v_mul_f64 v[116:117], v[116:117], s[30:31]
	v_add_f64 v[122:123], v[2:3], v[122:123]
	v_add_f64 v[124:125], v[2:3], v[124:125]
	;; [unrolled: 1-line block ×6, first 2 shown]
	v_fma_f64 v[182:183], v[112:113], s[12:13], v[60:61]
	v_fma_f64 v[60:61], v[112:113], s[12:13], -v[60:61]
	v_fma_f64 v[202:203], v[112:113], s[28:29], v[116:117]
	v_fma_f64 v[112:113], v[112:113], s[28:29], -v[116:117]
	v_mul_f64 v[54:55], v[22:23], s[28:29]
	v_mul_f64 v[22:23], v[22:23], s[6:7]
	v_add_f64 v[116:117], v[0:1], v[182:183]
	v_add_f64 v[60:61], v[0:1], v[60:61]
	;; [unrolled: 1-line block ×5, first 2 shown]
	v_fma_f64 v[0:1], v[14:15], s[30:31], v[54:55]
	v_add_f64 v[186:187], v[2:3], v[62:63]
	v_mul_f64 v[62:63], v[72:73], s[34:35]
	v_fma_f64 v[54:55], v[14:15], s[34:35], v[54:55]
	v_add_f64 v[0:1], v[0:1], v[64:65]
	v_mul_f64 v[64:65], v[74:75], s[18:19]
	v_fma_f64 v[2:3], v[68:69], s[28:29], v[62:63]
	v_add_f64 v[52:53], v[54:55], v[52:53]
	v_fma_f64 v[54:55], v[68:69], s[28:29], -v[62:63]
	v_fma_f64 v[62:63], v[130:131], s[22:23], -v[222:223]
	v_fma_f64 v[112:113], v[70:71], s[20:21], v[64:65]
	v_add_f64 v[2:3], v[2:3], v[116:117]
	v_add_f64 v[54:55], v[54:55], v[60:61]
	v_fma_f64 v[60:61], v[70:71], s[2:3], v[64:65]
	v_fma_f64 v[64:65], v[70:71], s[36:37], v[190:191]
	v_add_f64 v[0:1], v[112:113], v[0:1]
	v_mul_f64 v[112:113], v[84:85], s[2:3]
	v_add_f64 v[52:53], v[60:61], v[52:53]
	v_fma_f64 v[114:115], v[76:77], s[18:19], v[112:113]
	v_fma_f64 v[60:61], v[76:77], s[18:19], -v[112:113]
	v_fma_f64 v[112:113], v[130:131], s[0:1], v[206:207]
	v_add_f64 v[2:3], v[114:115], v[2:3]
	v_mul_f64 v[114:115], v[86:87], s[6:7]
	v_add_f64 v[54:55], v[60:61], v[54:55]
	v_fma_f64 v[116:117], v[78:79], s[8:9], v[114:115]
	v_fma_f64 v[60:61], v[78:79], s[36:37], v[114:115]
	;; [unrolled: 1-line block ×3, first 2 shown]
	v_add_f64 v[0:1], v[116:117], v[0:1]
	v_mul_f64 v[116:117], v[96:97], s[36:37]
	v_add_f64 v[52:53], v[60:61], v[52:53]
	v_fma_f64 v[214:215], v[88:89], s[6:7], v[116:117]
	v_fma_f64 v[60:61], v[88:89], s[6:7], -v[116:117]
	v_fma_f64 v[116:117], v[130:131], s[6:7], v[180:181]
	v_add_f64 v[2:3], v[214:215], v[2:3]
	v_mul_f64 v[214:215], v[98:99], s[0:1]
	v_add_f64 v[54:55], v[60:61], v[54:55]
	v_fma_f64 v[216:217], v[90:91], s[4:5], v[214:215]
	v_fma_f64 v[60:61], v[90:91], s[10:11], v[214:215]
	v_add_f64 v[0:1], v[216:217], v[0:1]
	v_mul_f64 v[216:217], v[108:109], s[10:11]
	v_add_f64 v[52:53], v[60:61], v[52:53]
	v_fma_f64 v[60:61], v[100:101], s[0:1], -v[216:217]
	v_fma_f64 v[218:219], v[100:101], s[0:1], v[216:217]
	v_add_f64 v[60:61], v[60:61], v[54:55]
	v_fma_f64 v[54:55], v[104:105], s[24:25], v[220:221]
	v_add_f64 v[218:219], v[218:219], v[2:3]
	;; [unrolled: 2-line block ×3, first 2 shown]
	v_add_f64 v[52:53], v[62:63], v[60:61]
	v_fma_f64 v[60:61], v[14:15], s[26:27], v[184:185]
	v_fma_f64 v[62:63], v[68:69], s[22:23], v[188:189]
	v_add_f64 v[2:3], v[2:3], v[0:1]
	v_fma_f64 v[0:1], v[130:131], s[22:23], v[222:223]
	global_store_dwordx4 v[12:13], v[52:55], off offset:1408
	v_add_f64 v[60:61], v[60:61], v[122:123]
	v_add_f64 v[62:63], v[62:63], v[182:183]
	v_fma_f64 v[122:123], v[70:71], s[10:11], v[142:143]
	v_add_f64 v[0:1], v[0:1], v[218:219]
	v_add_f64 v[60:61], v[64:65], v[60:61]
	v_fma_f64 v[64:65], v[76:77], s[6:7], v[192:193]
	v_add_f64 v[62:63], v[64:65], v[62:63]
	v_fma_f64 v[64:65], v[78:79], s[16:17], v[194:195]
	;; [unrolled: 2-line block ×6, first 2 shown]
	v_add_f64 v[62:63], v[62:63], v[60:61]
	v_add_f64 v[60:61], v[112:113], v[64:65]
	v_fma_f64 v[64:65], v[14:15], s[2:3], v[160:161]
	v_fma_f64 v[112:113], v[68:69], s[18:19], v[164:165]
	v_add_f64 v[64:65], v[64:65], v[124:125]
	v_add_f64 v[112:113], v[112:113], v[162:163]
	;; [unrolled: 1-line block ×3, first 2 shown]
	v_fma_f64 v[114:115], v[76:77], s[28:29], v[168:169]
	v_add_f64 v[112:113], v[114:115], v[112:113]
	v_fma_f64 v[114:115], v[78:79], s[24:25], v[170:171]
	v_add_f64 v[64:65], v[114:115], v[64:65]
	;; [unrolled: 2-line block ×6, first 2 shown]
	v_add_f64 v[114:115], v[114:115], v[64:65]
	v_fma_f64 v[64:65], v[14:15], s[14:15], v[136:137]
	v_fma_f64 v[116:117], v[68:69], s[12:13], v[140:141]
	v_add_f64 v[64:65], v[64:65], v[134:135]
	v_add_f64 v[116:117], v[116:117], v[138:139]
	v_fma_f64 v[134:135], v[130:131], s[18:19], v[156:157]
	v_add_f64 v[64:65], v[122:123], v[64:65]
	v_fma_f64 v[122:123], v[76:77], s[0:1], v[144:145]
	;; [unrolled: 2-line block ×8, first 2 shown]
	v_fma_f64 v[66:67], v[68:69], s[0:1], v[80:81]
	v_fma_f64 v[80:81], v[70:71], s[14:15], v[82:83]
	;; [unrolled: 1-line block ×3, first 2 shown]
	v_add_f64 v[122:123], v[134:135], v[116:117]
	v_add_f64 v[64:65], v[64:65], v[186:187]
	;; [unrolled: 1-line block ×4, first 2 shown]
	v_fma_f64 v[80:81], v[76:77], s[12:13], v[92:93]
	v_mul_f64 v[92:93], v[74:75], s[22:23]
	v_add_f64 v[66:67], v[80:81], v[66:67]
	v_fma_f64 v[80:81], v[78:79], s[2:3], v[94:95]
	v_fma_f64 v[74:75], v[70:71], s[26:27], v[92:93]
	v_add_f64 v[64:65], v[80:81], v[64:65]
	v_fma_f64 v[80:81], v[88:89], s[18:19], v[102:103]
	v_mul_f64 v[102:103], v[128:129], s[16:17]
	v_add_f64 v[66:67], v[80:81], v[66:67]
	v_fma_f64 v[80:81], v[90:91], s[26:27], v[106:107]
	v_add_f64 v[64:65], v[80:81], v[64:65]
	v_fma_f64 v[80:81], v[100:101], s[22:23], v[118:119]
	;; [unrolled: 2-line block ×3, first 2 shown]
	v_add_f64 v[66:67], v[66:67], v[64:65]
	v_add_f64 v[64:65], v[82:83], v[80:81]
	v_fma_f64 v[80:81], v[14:15], s[8:9], v[22:23]
	v_mul_f64 v[82:83], v[72:73], s[8:9]
	v_fma_f64 v[14:15], v[14:15], s[36:37], v[22:23]
	v_add_f64 v[80:81], v[80:81], v[210:211]
	v_fma_f64 v[72:73], v[68:69], s[6:7], -v[82:83]
	v_fma_f64 v[22:23], v[68:69], s[6:7], v[82:83]
	v_fma_f64 v[68:69], v[70:71], s[24:25], v[92:93]
	v_add_f64 v[14:15], v[14:15], v[158:159]
	v_add_f64 v[74:75], v[74:75], v[80:81]
	v_mul_f64 v[80:81], v[84:85], s[26:27]
	v_add_f64 v[72:73], v[72:73], v[212:213]
	v_add_f64 v[22:23], v[22:23], v[202:203]
	;; [unrolled: 1-line block ×3, first 2 shown]
	v_fma_f64 v[84:85], v[76:77], s[22:23], -v[80:81]
	v_fma_f64 v[70:71], v[76:77], s[22:23], v[80:81]
	v_add_f64 v[72:73], v[84:85], v[72:73]
	v_mul_f64 v[84:85], v[86:87], s[0:1]
	v_add_f64 v[22:23], v[70:71], v[22:23]
	v_fma_f64 v[86:87], v[78:79], s[10:11], v[84:85]
	v_fma_f64 v[76:77], v[78:79], s[4:5], v[84:85]
	v_add_f64 v[74:75], v[86:87], v[74:75]
	v_mul_f64 v[86:87], v[96:97], s[10:11]
	v_add_f64 v[14:15], v[76:77], v[14:15]
	v_fma_f64 v[94:95], v[88:89], s[0:1], -v[86:87]
	v_fma_f64 v[78:79], v[88:89], s[0:1], v[86:87]
	v_add_f64 v[72:73], v[94:95], v[72:73]
	v_mul_f64 v[94:95], v[98:99], s[18:19]
	v_add_f64 v[22:23], v[78:79], v[22:23]
	v_fma_f64 v[78:79], v[130:131], s[12:13], v[102:103]
	v_fma_f64 v[96:97], v[90:91], s[2:3], v[94:95]
	v_fma_f64 v[68:69], v[90:91], s[20:21], v[94:95]
	v_add_f64 v[74:75], v[96:97], v[74:75]
	v_mul_f64 v[96:97], v[108:109], s[2:3]
	v_add_f64 v[14:15], v[68:69], v[14:15]
	v_fma_f64 v[98:99], v[100:101], s[18:19], -v[96:97]
	v_fma_f64 v[70:71], v[100:101], s[18:19], v[96:97]
	v_add_f64 v[72:73], v[98:99], v[72:73]
	v_mul_f64 v[98:99], v[110:111], s[12:13]
	v_add_f64 v[22:23], v[70:71], v[22:23]
	v_fma_f64 v[76:77], v[104:105], s[14:15], v[98:99]
	v_fma_f64 v[106:107], v[104:105], s[16:17], v[98:99]
	v_add_f64 v[68:69], v[78:79], v[22:23]
	v_add_f64 v[70:71], v[76:77], v[14:15]
	;; [unrolled: 1-line block ×4, first 2 shown]
	v_fma_f64 v[106:107], v[130:131], s[12:13], -v[102:103]
	v_add_f64 v[14:15], v[40:41], v[14:15]
	v_add_f64 v[72:73], v[106:107], v[72:73]
	;; [unrolled: 1-line block ×11, first 2 shown]
	v_add_co_u32 v8, vcc_lo, 0x2800, v126
	v_add_co_ci_u32_e32 v9, vcc_lo, 0, v127, vcc_lo
	v_add_co_u32 v10, vcc_lo, 0x3000, v126
	v_add_co_ci_u32_e32 v11, vcc_lo, 0, v127, vcc_lo
	;; [unrolled: 2-line block ×5, first 2 shown]
	global_store_dwordx4 v[126:127], v[72:75], off offset:1600
	global_store_dwordx4 v[8:9], v[0:3], off offset:960
	;; [unrolled: 1-line block ×6, first 2 shown]
	global_store_dwordx4 v[126:127], v[4:7], off
	global_store_dwordx4 v[16:17], v[68:71], off offset:768
	s_endpgm
	.section	.rodata,"a",@progbits
	.p2align	6, 0x0
	.amdhsa_kernel fft_rtc_fwd_len1300_factors_10_10_13_wgs_130_tpt_130_dp_ip_CI_unitstride_sbrr_dirReg
		.amdhsa_group_segment_fixed_size 0
		.amdhsa_private_segment_fixed_size 0
		.amdhsa_kernarg_size 88
		.amdhsa_user_sgpr_count 6
		.amdhsa_user_sgpr_private_segment_buffer 1
		.amdhsa_user_sgpr_dispatch_ptr 0
		.amdhsa_user_sgpr_queue_ptr 0
		.amdhsa_user_sgpr_kernarg_segment_ptr 1
		.amdhsa_user_sgpr_dispatch_id 0
		.amdhsa_user_sgpr_flat_scratch_init 0
		.amdhsa_user_sgpr_private_segment_size 0
		.amdhsa_wavefront_size32 1
		.amdhsa_uses_dynamic_stack 0
		.amdhsa_system_sgpr_private_segment_wavefront_offset 0
		.amdhsa_system_sgpr_workgroup_id_x 1
		.amdhsa_system_sgpr_workgroup_id_y 0
		.amdhsa_system_sgpr_workgroup_id_z 0
		.amdhsa_system_sgpr_workgroup_info 0
		.amdhsa_system_vgpr_workitem_id 0
		.amdhsa_next_free_vgpr 224
		.amdhsa_next_free_sgpr 38
		.amdhsa_reserve_vcc 1
		.amdhsa_reserve_flat_scratch 0
		.amdhsa_float_round_mode_32 0
		.amdhsa_float_round_mode_16_64 0
		.amdhsa_float_denorm_mode_32 3
		.amdhsa_float_denorm_mode_16_64 3
		.amdhsa_dx10_clamp 1
		.amdhsa_ieee_mode 1
		.amdhsa_fp16_overflow 0
		.amdhsa_workgroup_processor_mode 1
		.amdhsa_memory_ordered 1
		.amdhsa_forward_progress 0
		.amdhsa_shared_vgpr_count 0
		.amdhsa_exception_fp_ieee_invalid_op 0
		.amdhsa_exception_fp_denorm_src 0
		.amdhsa_exception_fp_ieee_div_zero 0
		.amdhsa_exception_fp_ieee_overflow 0
		.amdhsa_exception_fp_ieee_underflow 0
		.amdhsa_exception_fp_ieee_inexact 0
		.amdhsa_exception_int_div_zero 0
	.end_amdhsa_kernel
	.text
.Lfunc_end0:
	.size	fft_rtc_fwd_len1300_factors_10_10_13_wgs_130_tpt_130_dp_ip_CI_unitstride_sbrr_dirReg, .Lfunc_end0-fft_rtc_fwd_len1300_factors_10_10_13_wgs_130_tpt_130_dp_ip_CI_unitstride_sbrr_dirReg
                                        ; -- End function
	.section	.AMDGPU.csdata,"",@progbits
; Kernel info:
; codeLenInByte = 9236
; NumSgprs: 40
; NumVgprs: 224
; ScratchSize: 0
; MemoryBound: 1
; FloatMode: 240
; IeeeMode: 1
; LDSByteSize: 0 bytes/workgroup (compile time only)
; SGPRBlocks: 4
; VGPRBlocks: 27
; NumSGPRsForWavesPerEU: 40
; NumVGPRsForWavesPerEU: 224
; Occupancy: 4
; WaveLimiterHint : 1
; COMPUTE_PGM_RSRC2:SCRATCH_EN: 0
; COMPUTE_PGM_RSRC2:USER_SGPR: 6
; COMPUTE_PGM_RSRC2:TRAP_HANDLER: 0
; COMPUTE_PGM_RSRC2:TGID_X_EN: 1
; COMPUTE_PGM_RSRC2:TGID_Y_EN: 0
; COMPUTE_PGM_RSRC2:TGID_Z_EN: 0
; COMPUTE_PGM_RSRC2:TIDIG_COMP_CNT: 0
	.text
	.p2alignl 6, 3214868480
	.fill 48, 4, 3214868480
	.type	__hip_cuid_432b8a6e214bc754,@object ; @__hip_cuid_432b8a6e214bc754
	.section	.bss,"aw",@nobits
	.globl	__hip_cuid_432b8a6e214bc754
__hip_cuid_432b8a6e214bc754:
	.byte	0                               ; 0x0
	.size	__hip_cuid_432b8a6e214bc754, 1

	.ident	"AMD clang version 19.0.0git (https://github.com/RadeonOpenCompute/llvm-project roc-6.4.0 25133 c7fe45cf4b819c5991fe208aaa96edf142730f1d)"
	.section	".note.GNU-stack","",@progbits
	.addrsig
	.addrsig_sym __hip_cuid_432b8a6e214bc754
	.amdgpu_metadata
---
amdhsa.kernels:
  - .args:
      - .actual_access:  read_only
        .address_space:  global
        .offset:         0
        .size:           8
        .value_kind:     global_buffer
      - .offset:         8
        .size:           8
        .value_kind:     by_value
      - .actual_access:  read_only
        .address_space:  global
        .offset:         16
        .size:           8
        .value_kind:     global_buffer
      - .actual_access:  read_only
        .address_space:  global
        .offset:         24
        .size:           8
        .value_kind:     global_buffer
      - .offset:         32
        .size:           8
        .value_kind:     by_value
      - .actual_access:  read_only
        .address_space:  global
        .offset:         40
        .size:           8
        .value_kind:     global_buffer
      - .actual_access:  read_only
        .address_space:  global
        .offset:         48
        .size:           8
        .value_kind:     global_buffer
      - .offset:         56
        .size:           4
        .value_kind:     by_value
      - .actual_access:  read_only
        .address_space:  global
        .offset:         64
        .size:           8
        .value_kind:     global_buffer
      - .actual_access:  read_only
        .address_space:  global
        .offset:         72
        .size:           8
        .value_kind:     global_buffer
      - .address_space:  global
        .offset:         80
        .size:           8
        .value_kind:     global_buffer
    .group_segment_fixed_size: 0
    .kernarg_segment_align: 8
    .kernarg_segment_size: 88
    .language:       OpenCL C
    .language_version:
      - 2
      - 0
    .max_flat_workgroup_size: 130
    .name:           fft_rtc_fwd_len1300_factors_10_10_13_wgs_130_tpt_130_dp_ip_CI_unitstride_sbrr_dirReg
    .private_segment_fixed_size: 0
    .sgpr_count:     40
    .sgpr_spill_count: 0
    .symbol:         fft_rtc_fwd_len1300_factors_10_10_13_wgs_130_tpt_130_dp_ip_CI_unitstride_sbrr_dirReg.kd
    .uniform_work_group_size: 1
    .uses_dynamic_stack: false
    .vgpr_count:     224
    .vgpr_spill_count: 0
    .wavefront_size: 32
    .workgroup_processor_mode: 1
amdhsa.target:   amdgcn-amd-amdhsa--gfx1030
amdhsa.version:
  - 1
  - 2
...

	.end_amdgpu_metadata
